;; amdgpu-corpus repo=zjin-lcf/HeCBench kind=compiled arch=gfx906 opt=O3
	.amdgcn_target "amdgcn-amd-amdhsa--gfx906"
	.amdhsa_code_object_version 6
	.text
	.protected	_Z18BP_queens_root_dfsijiPK10queen_rootPyS2_ ; -- Begin function _Z18BP_queens_root_dfsijiPK10queen_rootPyS2_
	.globl	_Z18BP_queens_root_dfsijiPK10queen_rootPyS2_
	.p2align	8
	.type	_Z18BP_queens_root_dfsijiPK10queen_rootPyS2_,@function
_Z18BP_queens_root_dfsijiPK10queen_rootPyS2_: ; @_Z18BP_queens_root_dfsijiPK10queen_rootPyS2_
; %bb.0:
	s_load_dword s0, s[4:5], 0x34
	s_load_dwordx4 s[44:47], s[4:5], 0x0
	s_waitcnt lgkmcnt(0)
	s_and_b32 s0, s0, 0xffff
	s_mul_i32 s6, s6, s0
	v_add_u32_e32 v0, s6, v0
	v_cmp_gt_u32_e32 vcc, s45, v0
	s_and_saveexec_b64 s[0:1], vcc
	s_cbranch_execz .LBB0_39
; %bb.1:
	s_load_dwordx4 s[40:43], s[4:5], 0x10
	s_load_dwordx2 s[48:49], s[4:5], 0x20
	s_mov_b32 s0, 0
	s_cmp_lt_i32 s44, 1
	v_mov_b32_e32 v5, 0
	v_mov_b32_e32 v4, 0
	;; [unrolled: 1-line block ×16, first 2 shown]
	s_cbranch_scc1 .LBB0_5
; %bb.2:
	s_cmp_eq_u32 s44, 1
	s_cbranch_scc1 .LBB0_6
; %bb.3:
	s_mov_b32 s4, 0
	s_and_b32 s19, s44, 0x7ffffffe
	s_mov_b64 s[0:1], 0
	s_mov_b32 s5, s4
	s_mov_b32 s2, s4
	;; [unrolled: 1-line block ×4, first 2 shown]
.LBB0_4:                                ; =>This Inner Loop Header: Depth=1
	s_lshr_b64 s[26:27], s[2:3], 24
	s_lshr_b32 s33, s5, 8
	s_lshr_b32 s45, s5, 16
	;; [unrolled: 1-line block ×13, first 2 shown]
	s_lshr_b64 s[20:21], s[4:5], 24
	s_cmp_lg_u32 s0, 16
	s_cselect_b64 s[6:7], -1, 0
	s_cmp_lg_u32 s0, 17
	s_cselect_b64 s[8:9], -1, 0
	;; [unrolled: 2-line block ×20, first 2 shown]
	s_add_i32 s75, s0, 1
	s_cmp_lg_u32 s75, 3
	s_cselect_b64 s[64:65], -1, 0
	s_and_b64 s[62:63], s[64:65], s[62:63]
	s_and_b64 s[62:63], s[62:63], exec
	s_cselect_b32 s20, s20, 0xffff
	s_cmp_lg_u32 s75, 2
	s_cselect_b64 s[62:63], -1, 0
	s_and_b64 s[60:61], s[62:63], s[60:61]
	s_and_b64 s[60:61], s[60:61], exec
	s_cselect_b32 s21, s74, 0xffff
	;; [unrolled: 5-line block ×20, first 2 shown]
	s_lshl_b32 s2, s23, 8
	s_and_b32 s3, s25, 0xff
	s_lshl_b32 s4, s20, 8
	s_and_b32 s5, s21, 0xff
	;; [unrolled: 2-line block ×8, first 2 shown]
	s_lshl_b32 s45, s8, 8
	s_lshl_b32 s47, s12, 8
	s_and_b32 s50, s10, 0xff
	s_or_b32 s2, s3, s2
	s_or_b32 s3, s5, s4
	;; [unrolled: 1-line block ×5, first 2 shown]
	s_and_b32 s15, s6, 0xff
	s_or_b32 s5, s13, s11
	s_or_b32 s11, s37, s36
	;; [unrolled: 1-line block ×4, first 2 shown]
	s_and_b32 s2, s2, 0xffff
	s_lshl_b32 s3, s3, 16
	s_and_b32 s7, s7, 0xffff
	s_lshl_b32 s9, s9, 16
	s_or_b32 s15, s15, s45
	s_and_b32 s18, s4, 0xffff
	s_lshl_b32 s5, s5, 16
	s_and_b32 s11, s11, 0xffff
	s_lshl_b32 s13, s13, 16
	s_lshl_b32 s17, s17, 16
	s_or_b32 s4, s2, s3
	s_or_b32 s2, s7, s9
	s_and_b32 s7, s15, 0xffff
	s_or_b32 s5, s18, s5
	s_or_b32 s3, s11, s13
	;; [unrolled: 1-line block ×3, first 2 shown]
	s_add_u32 s0, s0, 2
	s_addc_u32 s1, s1, 0
	s_cmp_lg_u32 s19, s0
	s_cbranch_scc1 .LBB0_4
	s_branch .LBB0_7
.LBB0_5:
	s_mov_b32 s1, 0
	s_mov_b32 s3, 0
	;; [unrolled: 1-line block ×3, first 2 shown]
	s_branch .LBB0_8
.LBB0_6:
	s_mov_b32 s18, 0
	s_mov_b64 s[0:1], 0
	s_mov_b32 s3, 0
	s_mov_b32 s2, s18
	;; [unrolled: 1-line block ×4, first 2 shown]
                                        ; implicit-def: $sgpr6
                                        ; implicit-def: $sgpr8
                                        ; implicit-def: $sgpr10
                                        ; implicit-def: $sgpr12
                                        ; implicit-def: $sgpr14
                                        ; implicit-def: $sgpr16
                                        ; implicit-def: $sgpr33
                                        ; implicit-def: $sgpr30
                                        ; implicit-def: $sgpr34
                                        ; implicit-def: $sgpr31
                                        ; implicit-def: $sgpr28
                                        ; implicit-def: $sgpr26
                                        ; implicit-def: $sgpr29
                                        ; implicit-def: $sgpr27
                                        ; implicit-def: $sgpr24
                                        ; implicit-def: $sgpr22
                                        ; implicit-def: $sgpr25
                                        ; implicit-def: $sgpr23
                                        ; implicit-def: $sgpr21
                                        ; implicit-def: $sgpr20
.LBB0_7:
	v_mov_b32_e32 v2, 0xc0c0004
	v_mov_b32_e32 v3, s20
	;; [unrolled: 1-line block ×3, first 2 shown]
	v_perm_b32 v3, s21, v3, v2
	v_perm_b32 v1, s25, v1, v2
	v_lshlrev_b32_e32 v3, 16, v3
	v_mov_b32_e32 v4, s22
	v_or_b32_e32 v1, v1, v3
	v_mov_b32_e32 v3, s27
	v_perm_b32 v4, s24, v4, v2
	v_perm_b32 v3, s29, v3, v2
	v_lshlrev_b32_e32 v4, 16, v4
	v_mov_b32_e32 v5, s26
	v_or_b32_e32 v3, v3, v4
	v_mov_b32_e32 v4, s31
	v_perm_b32 v5, s28, v5, v2
	v_perm_b32 v4, s34, v4, v2
	v_lshlrev_b32_e32 v5, 16, v5
	v_mov_b32_e32 v6, s30
	v_or_b32_e32 v4, v4, v5
	v_mov_b32_e32 v5, s16
	v_perm_b32 v6, s33, v6, v2
	v_perm_b32 v5, s14, v5, v2
	v_lshlrev_b32_e32 v6, 16, v6
	v_or_b32_e32 v5, v5, v6
	v_mov_b32_e32 v6, s8
	v_mov_b32_e32 v7, s12
	v_perm_b32 v6, s6, v6, v2
	v_perm_b32 v2, s10, v7, v2
	v_readfirstlane_b32 s6, v2
	s_lshl_b32 s6, s6, 16
	v_readfirstlane_b32 s8, v6
	s_lshr_b32 s1, s5, 8
	s_lshr_b32 s7, s5, 16
	;; [unrolled: 1-line block ×6, first 2 shown]
	s_and_b32 s17, s44, 1
	s_or_b32 s6, s8, s6
	s_lshr_b32 s8, s4, 24
	s_cmp_lg_u32 s0, 3
	s_cselect_b32 s8, s8, 0xffff
	s_lshl_b32 s8, s8, 24
	s_lshr_b32 s10, s4, 16
	s_cmp_lg_u32 s0, 2
	s_cselect_b32 s10, s10, 0xffff
	s_and_b32 s10, s10, 0xff
	s_lshl_b32 s10, s10, 16
	s_or_b32 s8, s8, s10
	s_lshr_b32 s10, s4, 8
	s_cmp_lg_u32 s0, 1
	s_cselect_b32 s10, s10, 0xffff
	s_lshl_b32 s10, s10, 8
	s_cmp_lg_u32 s0, 0
	s_cselect_b32 s4, s4, 0xffff
	s_and_b32 s4, s4, 0xff
	s_or_b32 s4, s4, s10
	s_and_b32 s4, s4, 0xffff
	s_or_b32 s4, s4, s8
	s_cmp_lg_u32 s0, 7
	s_cselect_b32 s8, s9, 0xffff
	s_lshl_b32 s8, s8, 24
	s_cmp_lg_u32 s0, 6
	s_cselect_b32 s7, s7, 0xffff
	s_and_b32 s7, s7, 0xff
	s_lshl_b32 s7, s7, 16
	s_or_b32 s7, s8, s7
	s_cmp_lg_u32 s0, 5
	s_cselect_b32 s1, s1, 0xffff
	s_lshl_b32 s1, s1, 8
	s_cmp_lg_u32 s0, 4
	s_cselect_b32 s5, s5, 0xffff
	s_and_b32 s5, s5, 0xff
	s_or_b32 s1, s5, s1
	s_and_b32 s1, s1, 0xffff
	s_or_b32 s5, s1, s7
	s_lshr_b32 s1, s18, 24
	s_cmp_lg_u32 s0, 19
	s_cselect_b32 s1, s1, 0xffff
	s_lshl_b32 s1, s1, 24
	s_lshr_b32 s7, s18, 16
	s_cmp_lg_u32 s0, 18
	s_cselect_b32 s7, s7, 0xffff
	s_and_b32 s7, s7, 0xff
	s_lshl_b32 s7, s7, 16
	s_or_b32 s1, s1, s7
	s_lshr_b32 s7, s18, 8
	s_cmp_lg_u32 s0, 17
	s_cselect_b32 s7, s7, 0xffff
	s_lshl_b32 s7, s7, 8
	s_cmp_lg_u32 s0, 16
	s_cselect_b32 s8, s18, 0xffff
	s_and_b32 s8, s8, 0xff
	s_or_b32 s7, s8, s7
	s_and_b32 s7, s7, 0xffff
	s_or_b32 s1, s7, s1
	s_lshr_b32 s7, s2, 24
	s_cmp_lg_u32 s0, 11
	s_cselect_b32 s7, s7, 0xffff
	s_lshl_b32 s7, s7, 24
	s_lshr_b32 s8, s2, 16
	s_cmp_lg_u32 s0, 10
	s_cselect_b32 s8, s8, 0xffff
	s_and_b32 s8, s8, 0xff
	s_lshl_b32 s8, s8, 16
	s_or_b32 s7, s7, s8
	s_lshr_b32 s8, s2, 8
	s_cmp_lg_u32 s0, 9
	s_cselect_b32 s8, s8, 0xffff
	s_lshl_b32 s8, s8, 8
	s_cmp_lg_u32 s0, 8
	s_cselect_b32 s2, s2, 0xffff
	s_and_b32 s2, s2, 0xff
	s_or_b32 s2, s2, s8
	s_and_b32 s2, s2, 0xffff
	s_or_b32 s2, s2, s7
	s_cmp_lg_u32 s0, 15
	s_cselect_b32 s7, s15, 0xffff
	s_lshl_b32 s7, s7, 24
	s_cmp_lg_u32 s0, 14
	s_cselect_b32 s8, s13, 0xffff
	s_and_b32 s8, s8, 0xff
	s_lshl_b32 s8, s8, 16
	s_or_b32 s7, s7, s8
	s_cmp_lg_u32 s0, 13
	s_cselect_b32 s8, s11, 0xffff
	s_lshl_b32 s8, s8, 8
	s_cmp_lg_u32 s0, 12
	s_cselect_b32 s0, s3, 0xffff
	s_and_b32 s0, s0, 0xff
	s_or_b32 s0, s0, s8
	s_and_b32 s0, s0, 0xffff
	s_or_b32 s0, s0, s7
	s_cmp_eq_u32 s17, 0
	v_mov_b32_e32 v2, s0
	s_cselect_b64 vcc, -1, 0
	v_cndmask_b32_e32 v5, v2, v5, vcc
	v_mov_b32_e32 v2, s2
	v_cndmask_b32_e32 v4, v2, v4, vcc
	v_mov_b32_e32 v2, s5
	;; [unrolled: 2-line block ×3, first 2 shown]
	v_cndmask_b32_e32 v2, v2, v1, vcc
	s_cselect_b32 s1, s6, s1
	v_lshrrev_b64 v[8:9], 24, v[4:5]
	v_lshrrev_b64 v[6:7], 24, v[2:3]
	s_lshr_b32 s0, s1, 24
	s_lshr_b32 s2, s1, 16
	;; [unrolled: 1-line block ×3, first 2 shown]
	v_lshrrev_b32_e32 v26, 24, v5
	v_lshrrev_b32_e32 v25, 16, v5
	;; [unrolled: 1-line block ×10, first 2 shown]
.LBB0_8:
	v_ashrrev_i32_e32 v1, 31, v0
	v_lshlrev_b64 v[9:10], 4, v[0:1]
	s_waitcnt lgkmcnt(0)
	v_mov_b32_e32 v11, s41
	v_add_co_u32_e32 v9, vcc, s40, v9
	v_addc_co_u32_e32 v10, vcc, v11, v10, vcc
	global_load_dword v23, v[9:10], off
	s_cmp_lt_i32 s46, 1
	s_cbranch_scc1 .LBB0_13
; %bb.9:
	s_cmp_eq_u32 s46, 1
	s_cbranch_scc1 .LBB0_14
; %bb.10:
	s_and_b32 s33, s46, 0x7ffffffe
	s_mov_b64 s[40:41], 0
	v_mov_b32_e32 v27, s1
	v_mov_b32_e32 v28, s3
	;; [unrolled: 1-line block ×4, first 2 shown]
.LBB0_11:                               ; =>This Inner Loop Header: Depth=1
	v_mov_b32_e32 v12, s41
	v_add_co_u32_e32 v11, vcc, s40, v9
	v_addc_co_u32_e32 v12, vcc, v10, v12, vcc
	global_load_ushort v13, v[11:12], off offset:4
	s_cmp_eq_u32 s40, 19
	s_cselect_b64 vcc, -1, 0
	s_cmp_eq_u32 s40, 18
	s_cselect_b64 s[0:1], -1, 0
	s_cmp_eq_u32 s40, 17
	s_cselect_b64 s[2:3], -1, 0
	;; [unrolled: 2-line block ×19, first 2 shown]
	s_add_i32 s45, s40, 1
	s_cmp_eq_u32 s45, 2
	s_waitcnt vmcnt(0)
	v_lshrrev_b16_e32 v11, 8, v13
	v_cndmask_b32_e32 v12, v30, v13, vcc
	v_cndmask_b32_e64 v7, v7, v13, s[38:39]
	s_cselect_b64 vcc, -1, 0
	s_cmp_eq_u32 s45, 1
	v_cndmask_b32_e64 v17, v17, v13, s[36:37]
	v_cndmask_b32_e32 v7, v7, v11, vcc
	s_cselect_b64 vcc, -1, 0
	s_cmp_eq_u32 s45, 0
	v_cndmask_b32_e64 v2, v2, v13, s[34:35]
	v_cndmask_b32_e32 v17, v17, v11, vcc
	;; [unrolled: 4-line block ×18, first 2 shown]
	s_cselect_b64 vcc, -1, 0
	s_cmp_eq_u32 s45, 19
	v_cndmask_b32_e32 v29, v14, v11, vcc
	s_cselect_b64 vcc, -1, 0
	s_add_u32 s40, s40, 2
	s_addc_u32 s41, s41, 0
	s_cmp_lg_u32 s33, s40
	v_cndmask_b32_e32 v30, v12, v11, vcc
	s_cbranch_scc1 .LBB0_11
; %bb.12:
	s_mov_b32 s41, 0
	s_bitcmp0_b32 s46, 0
	s_cbranch_scc0 .LBB0_15
	s_branch .LBB0_16
.LBB0_13:
	v_mov_b32_e32 v27, s1
	v_mov_b32_e32 v28, s3
	;; [unrolled: 1-line block ×4, first 2 shown]
	s_branch .LBB0_16
.LBB0_14:
	v_mov_b32_e32 v27, s1
	v_mov_b32_e32 v28, s3
	;; [unrolled: 1-line block ×4, first 2 shown]
	s_mov_b64 s[40:41], 0
	s_bitcmp0_b32 s46, 0
	s_cbranch_scc1 .LBB0_16
.LBB0_15:
	v_mov_b32_e32 v11, s41
	v_add_co_u32_e32 v9, vcc, s40, v9
	v_addc_co_u32_e32 v10, vcc, v10, v11, vcc
	global_load_ubyte v9, v[9:10], off offset:4
	s_cmp_eq_u32 s40, 2
	s_cselect_b64 vcc, -1, 0
	s_cmp_eq_u32 s40, 1
	s_cselect_b64 s[0:1], -1, 0
	s_cmp_eq_u32 s40, 0
	s_cselect_b64 s[2:3], -1, 0
	;; [unrolled: 2-line block ×18, first 2 shown]
	s_cmp_eq_u32 s40, 19
	s_waitcnt vmcnt(0)
	v_cndmask_b32_e32 v7, v7, v9, vcc
	s_cselect_b64 vcc, -1, 0
	v_cndmask_b32_e64 v17, v17, v9, s[0:1]
	v_cndmask_b32_e64 v2, v2, v9, s[2:3]
	;; [unrolled: 1-line block ×18, first 2 shown]
	v_cndmask_b32_e32 v30, v30, v9, vcc
.LBB0_16:
	v_mov_b32_e32 v11, 0
	v_mov_b32_e32 v9, 0
	s_mov_b64 s[38:39], 0
	v_mov_b32_e32 v33, s46
	v_mov_b32_e32 v12, 0
	;; [unrolled: 1-line block ×5, first 2 shown]
	v_mov_b32_e32 v32, -1
	s_branch .LBB0_18
.LBB0_17:                               ;   in Loop: Header=BB0_18 Depth=1
	s_or_b64 exec, exec, s[2:3]
	v_cmp_gt_i32_e32 vcc, s46, v13
	s_or_b64 s[38:39], vcc, s[38:39]
	v_mov_b32_e32 v33, v13
	s_andn2_b64 exec, exec, s[38:39]
	s_cbranch_execz .LBB0_38
.LBB0_18:                               ; =>This Loop Header: Depth=1
                                        ;     Child Loop BB0_24 Depth 2
                                        ;     Child Loop BB0_28 Depth 2
	v_cmp_eq_u32_e32 vcc, 1, v33
	v_cndmask_b32_e32 v13, v2, v17, vcc
	v_cmp_eq_u32_e64 s[0:1], 2, v33
	v_cndmask_b32_e64 v13, v13, v7, s[0:1]
	v_cmp_eq_u32_e64 s[2:3], 3, v33
	v_cndmask_b32_e64 v13, v13, v6, s[2:3]
	;; [unrolled: 2-line block ×18, first 2 shown]
	v_add_u16_e32 v15, 1, v13
	v_cndmask_b32_e32 v17, v17, v15, vcc
	v_cmp_eq_u32_e32 vcc, 0, v33
	v_bfe_i32 v34, v15, 0, 8
	v_cndmask_b32_e64 v30, v30, v15, s[36:37]
	v_cndmask_b32_e64 v29, v29, v15, s[34:35]
	;; [unrolled: 1-line block ×18, first 2 shown]
	v_cndmask_b32_e32 v2, v2, v15, vcc
	v_cmp_ne_u32_e32 vcc, s44, v34
	s_mov_b64 s[0:1], 0
                                        ; implicit-def: $vgpr13
	s_and_saveexec_b64 s[2:3], vcc
	s_xor_b64 s[4:5], exec, s[2:3]
	s_cbranch_execnz .LBB0_21
; %bb.19:                               ;   in Loop: Header=BB0_18 Depth=1
	s_andn2_saveexec_b64 s[2:3], s[4:5]
	s_cbranch_execnz .LBB0_36
.LBB0_20:                               ;   in Loop: Header=BB0_18 Depth=1
	s_or_b64 exec, exec, s[2:3]
	s_and_saveexec_b64 s[2:3], s[0:1]
	s_cbranch_execz .LBB0_17
	s_branch .LBB0_37
.LBB0_21:                               ;   in Loop: Header=BB0_18 Depth=1
	s_waitcnt vmcnt(0)
	v_bfe_u32 v13, v23, v34, 1
	v_cmp_eq_u32_e32 vcc, 0, v13
	v_mov_b32_e32 v13, v33
	s_and_saveexec_b64 s[6:7], vcc
	s_cbranch_execz .LBB0_35
; %bb.22:                               ;   in Loop: Header=BB0_18 Depth=1
	v_cmp_lt_i32_e32 vcc, 0, v33
	s_mov_b64 s[8:9], -1
	s_and_saveexec_b64 s[2:3], vcc
	s_cbranch_execz .LBB0_26
; %bb.23:                               ;   in Loop: Header=BB0_18 Depth=1
	v_cmp_eq_u32_e64 s[0:1], 1, v33
	v_cndmask_b32_e64 v13, v2, v17, s[0:1]
	v_cmp_eq_u32_e64 s[0:1], 2, v33
	v_cndmask_b32_e64 v13, v13, v7, s[0:1]
	;; [unrolled: 2-line block ×19, first 2 shown]
	s_mov_b64 s[10:11], -1
	s_mov_b64 s[8:9], 0
	s_mov_b64 s[14:15], 0
                                        ; implicit-def: $sgpr12_sgpr13
.LBB0_24:                               ;   Parent Loop BB0_18 Depth=1
                                        ; =>  This Inner Loop Header: Depth=2
	s_cmp_eq_u32 s14, 1
	s_cselect_b64 s[0:1], -1, 0
	s_cmp_eq_u32 s14, 2
	v_cndmask_b32_e64 v13, v2, v17, s[0:1]
	s_cselect_b64 s[0:1], -1, 0
	s_cmp_eq_u32 s14, 3
	v_cndmask_b32_e64 v13, v13, v7, s[0:1]
	;; [unrolled: 3-line block ×18, first 2 shown]
	s_cselect_b64 s[0:1], -1, 0
	v_cndmask_b32_e64 v13, v13, v30, s[0:1]
	v_cmp_ne_u16_sdwa s[0:1], v13, v15 src0_sel:BYTE_0 src1_sel:BYTE_0
	s_and_b64 s[10:11], s[0:1], s[10:11]
	s_add_u32 s14, s14, 1
	s_addc_u32 s15, s15, 0
	v_cmp_eq_u32_e64 s[0:1], s14, v33
	s_or_b64 s[8:9], s[0:1], s[8:9]
	s_andn2_b64 s[0:1], s[12:13], exec
	s_and_b64 s[12:13], s[10:11], exec
	s_or_b64 s[12:13], s[0:1], s[12:13]
	s_andn2_b64 exec, exec, s[8:9]
	s_cbranch_execnz .LBB0_24
; %bb.25:                               ;   in Loop: Header=BB0_18 Depth=1
	s_or_b64 exec, exec, s[8:9]
	s_orn2_b64 s[8:9], s[12:13], exec
.LBB0_26:                               ;   in Loop: Header=BB0_18 Depth=1
	s_or_b64 exec, exec, s[2:3]
	v_add_u32_e32 v35, 1, v33
	s_and_saveexec_b64 s[10:11], vcc
	s_cbranch_execz .LBB0_30
; %bb.27:                               ;   in Loop: Header=BB0_18 Depth=1
	v_add_u32_e32 v13, -1, v33
	v_add_u32_sdwa v37, sext(v15), v31 dst_sel:DWORD dst_unused:UNUSED_PAD src0_sel:BYTE_0 src1_sel:DWORD
	v_add_u32_sdwa v38, sext(v15), v32 dst_sel:DWORD dst_unused:UNUSED_PAD src0_sel:BYTE_0 src1_sel:DWORD
	v_mov_b32_e32 v16, v14
	v_add_u32_e32 v36, 1, v33
	s_mov_b64 s[12:13], 0
	s_mov_b64 s[16:17], s[8:9]
	v_mov_b32_e32 v15, v13
                                        ; implicit-def: $sgpr14_sgpr15
.LBB0_28:                               ;   Parent Loop BB0_18 Depth=1
                                        ; =>  This Inner Loop Header: Depth=2
	v_cmp_eq_u32_e32 vcc, 1, v15
	v_cndmask_b32_e32 v13, v2, v17, vcc
	v_cmp_eq_u32_e32 vcc, 2, v15
	v_cndmask_b32_e32 v13, v13, v7, vcc
	v_cmp_eq_u32_e64 s[0:1], 3, v15
	v_cndmask_b32_e64 v13, v13, v6, s[0:1]
	v_cmp_eq_u32_e64 s[0:1], 4, v15
	v_cndmask_b32_e64 v13, v13, v3, s[0:1]
	v_cmp_eq_u32_e64 s[0:1], 5, v15
	v_cndmask_b32_e64 v13, v13, v18, s[0:1]
	v_cmp_eq_u32_e64 s[0:1], 6, v15
	v_cndmask_b32_e64 v13, v13, v19, s[0:1]
	v_cmp_eq_u32_e64 s[0:1], 7, v15
	v_cndmask_b32_e64 v13, v13, v20, s[0:1]
	v_cmp_eq_u32_e64 s[0:1], 8, v15
	v_cndmask_b32_e64 v13, v13, v4, s[0:1]
	v_cmp_eq_u32_e64 s[0:1], 9, v15
	v_cndmask_b32_e64 v13, v13, v21, s[0:1]
	v_cmp_eq_u32_e64 s[0:1], 10, v15
	v_cndmask_b32_e64 v13, v13, v22, s[0:1]
	v_cmp_eq_u32_e64 s[0:1], 11, v15
	v_cndmask_b32_e64 v13, v13, v8, s[0:1]
	v_cmp_eq_u32_e64 s[0:1], 12, v15
	v_cndmask_b32_e64 v13, v13, v5, s[0:1]
	v_cmp_eq_u32_e64 s[0:1], 13, v15
	v_cndmask_b32_e64 v13, v13, v24, s[0:1]
	v_cmp_eq_u32_e64 s[0:1], 14, v15
	v_cndmask_b32_e64 v13, v13, v25, s[0:1]
	v_cmp_eq_u32_e64 s[0:1], 15, v15
	v_cndmask_b32_e64 v13, v13, v26, s[0:1]
	v_cmp_eq_u32_e64 s[0:1], 16, v15
	v_cndmask_b32_e64 v13, v13, v27, s[0:1]
	v_cmp_eq_u32_e64 s[0:1], 17, v15
	v_cndmask_b32_e64 v13, v13, v28, s[0:1]
	v_cmp_eq_u32_e64 s[0:1], 18, v15
	v_cndmask_b32_e64 v13, v13, v29, s[0:1]
	v_cmp_eq_u32_e64 s[0:1], 19, v15
	v_add_co_u32_e64 v15, s[2:3], -1, v15
	v_addc_co_u32_e64 v16, s[2:3], -1, v16, s[2:3]
	v_cndmask_b32_e64 v13, v13, v30, s[0:1]
	v_cmp_ne_u32_sdwa s[0:1], v38, sext(v13) src0_sel:DWORD src1_sel:BYTE_0
	v_cmp_ne_u32_sdwa s[2:3], v37, sext(v13) src0_sel:DWORD src1_sel:BYTE_0
	v_add_u32_e32 v36, -1, v36
	s_and_b64 s[0:1], s[0:1], s[2:3]
	v_cmp_gt_u32_e32 vcc, 2, v36
	s_and_b64 s[16:17], s[0:1], s[16:17]
	s_or_b64 s[12:13], vcc, s[12:13]
	s_andn2_b64 s[0:1], s[14:15], exec
	s_and_b64 s[2:3], s[16:17], exec
	v_add_u32_e32 v37, 1, v37
	v_add_u32_e32 v38, -1, v38
	s_or_b64 s[14:15], s[0:1], s[2:3]
	s_andn2_b64 exec, exec, s[12:13]
	s_cbranch_execnz .LBB0_28
; %bb.29:                               ;   in Loop: Header=BB0_18 Depth=1
	s_or_b64 exec, exec, s[12:13]
	s_andn2_b64 s[0:1], s[8:9], exec
	s_and_b64 s[2:3], s[14:15], exec
	s_or_b64 s[8:9], s[0:1], s[2:3]
.LBB0_30:                               ;   in Loop: Header=BB0_18 Depth=1
	s_or_b64 exec, exec, s[10:11]
	s_mov_b64 s[2:3], 0
	v_mov_b32_e32 v13, v33
	s_and_saveexec_b64 s[0:1], s[8:9]
	s_cbranch_execz .LBB0_34
; %bb.31:                               ;   in Loop: Header=BB0_18 Depth=1
	v_cmp_eq_u32_e32 vcc, s44, v35
	s_and_saveexec_b64 s[8:9], vcc
	s_xor_b64 s[8:9], exec, s[8:9]
; %bb.32:                               ;   in Loop: Header=BB0_18 Depth=1
	v_add_co_u32_e32 v11, vcc, 1, v11
	s_mov_b64 s[2:3], exec
	v_addc_co_u32_e32 v12, vcc, 0, v12, vcc
	v_mov_b32_e32 v35, v33
; %bb.33:                               ;   in Loop: Header=BB0_18 Depth=1
	s_or_b64 exec, exec, s[8:9]
	v_lshlrev_b64 v[15:16], v34, 1
	v_add_co_u32_e32 v9, vcc, 1, v9
	v_addc_co_u32_e32 v10, vcc, 0, v10, vcc
	v_or_b32_e32 v23, v23, v15
	s_and_b64 s[2:3], s[2:3], exec
	v_mov_b32_e32 v13, v35
.LBB0_34:                               ;   in Loop: Header=BB0_18 Depth=1
	s_or_b64 exec, exec, s[0:1]
	s_and_b64 s[0:1], s[2:3], exec
.LBB0_35:                               ;   in Loop: Header=BB0_18 Depth=1
	s_or_b64 exec, exec, s[6:7]
	s_and_b64 s[0:1], s[0:1], exec
	s_andn2_saveexec_b64 s[2:3], s[4:5]
	s_cbranch_execz .LBB0_20
.LBB0_36:                               ;   in Loop: Header=BB0_18 Depth=1
	v_cmp_ne_u32_e32 vcc, 2, v33
	v_cndmask_b32_e32 v7, -1, v7, vcc
	v_cmp_ne_u32_e32 vcc, 1, v33
	v_cndmask_b32_e32 v17, -1, v17, vcc
	;; [unrolled: 2-line block ×19, first 2 shown]
	v_cmp_ne_u32_e32 vcc, 19, v33
	v_add_u32_e32 v33, -1, v33
	v_cndmask_b32_e32 v30, -1, v30, vcc
	s_or_b64 s[0:1], s[0:1], exec
	v_mov_b32_e32 v13, v33
	s_or_b64 exec, exec, s[2:3]
	s_and_saveexec_b64 s[2:3], s[0:1]
	s_cbranch_execz .LBB0_17
.LBB0_37:                               ;   in Loop: Header=BB0_18 Depth=1
	v_cmp_eq_u32_e32 vcc, 1, v33
	v_cndmask_b32_e32 v15, v2, v17, vcc
	v_cmp_eq_u32_e32 vcc, 2, v33
	v_cndmask_b32_e32 v15, v15, v7, vcc
	;; [unrolled: 2-line block ×19, first 2 shown]
	v_bfe_i32 v15, v15, 0, 8
	v_lshlrev_b64 v[15:16], v15, 1
	s_waitcnt vmcnt(0)
	v_bfi_b32 v23, v15, 0, v23
	s_branch .LBB0_17
.LBB0_38:
	s_or_b64 exec, exec, s[38:39]
	v_lshlrev_b64 v[0:1], 3, v[0:1]
	v_mov_b32_e32 v3, s49
	v_add_co_u32_e32 v2, vcc, s48, v0
	v_addc_co_u32_e32 v3, vcc, v3, v1, vcc
	global_store_dwordx2 v[2:3], v[11:12], off
	v_mov_b32_e32 v2, s43
	v_add_co_u32_e32 v0, vcc, s42, v0
	v_addc_co_u32_e32 v1, vcc, v2, v1, vcc
	global_store_dwordx2 v[0:1], v[9:10], off
.LBB0_39:
	s_endpgm
	.section	.rodata,"a",@progbits
	.p2align	6, 0x0
	.amdhsa_kernel _Z18BP_queens_root_dfsijiPK10queen_rootPyS2_
		.amdhsa_group_segment_fixed_size 0
		.amdhsa_private_segment_fixed_size 0
		.amdhsa_kernarg_size 296
		.amdhsa_user_sgpr_count 6
		.amdhsa_user_sgpr_private_segment_buffer 1
		.amdhsa_user_sgpr_dispatch_ptr 0
		.amdhsa_user_sgpr_queue_ptr 0
		.amdhsa_user_sgpr_kernarg_segment_ptr 1
		.amdhsa_user_sgpr_dispatch_id 0
		.amdhsa_user_sgpr_flat_scratch_init 0
		.amdhsa_user_sgpr_private_segment_size 0
		.amdhsa_uses_dynamic_stack 0
		.amdhsa_system_sgpr_private_segment_wavefront_offset 0
		.amdhsa_system_sgpr_workgroup_id_x 1
		.amdhsa_system_sgpr_workgroup_id_y 0
		.amdhsa_system_sgpr_workgroup_id_z 0
		.amdhsa_system_sgpr_workgroup_info 0
		.amdhsa_system_vgpr_workitem_id 0
		.amdhsa_next_free_vgpr 39
		.amdhsa_next_free_sgpr 76
		.amdhsa_reserve_vcc 1
		.amdhsa_reserve_flat_scratch 0
		.amdhsa_float_round_mode_32 0
		.amdhsa_float_round_mode_16_64 0
		.amdhsa_float_denorm_mode_32 3
		.amdhsa_float_denorm_mode_16_64 3
		.amdhsa_dx10_clamp 1
		.amdhsa_ieee_mode 1
		.amdhsa_fp16_overflow 0
		.amdhsa_exception_fp_ieee_invalid_op 0
		.amdhsa_exception_fp_denorm_src 0
		.amdhsa_exception_fp_ieee_div_zero 0
		.amdhsa_exception_fp_ieee_overflow 0
		.amdhsa_exception_fp_ieee_underflow 0
		.amdhsa_exception_fp_ieee_inexact 0
		.amdhsa_exception_int_div_zero 0
	.end_amdhsa_kernel
	.text
.Lfunc_end0:
	.size	_Z18BP_queens_root_dfsijiPK10queen_rootPyS2_, .Lfunc_end0-_Z18BP_queens_root_dfsijiPK10queen_rootPyS2_
                                        ; -- End function
	.set _Z18BP_queens_root_dfsijiPK10queen_rootPyS2_.num_vgpr, 39
	.set _Z18BP_queens_root_dfsijiPK10queen_rootPyS2_.num_agpr, 0
	.set _Z18BP_queens_root_dfsijiPK10queen_rootPyS2_.numbered_sgpr, 76
	.set _Z18BP_queens_root_dfsijiPK10queen_rootPyS2_.num_named_barrier, 0
	.set _Z18BP_queens_root_dfsijiPK10queen_rootPyS2_.private_seg_size, 0
	.set _Z18BP_queens_root_dfsijiPK10queen_rootPyS2_.uses_vcc, 1
	.set _Z18BP_queens_root_dfsijiPK10queen_rootPyS2_.uses_flat_scratch, 0
	.set _Z18BP_queens_root_dfsijiPK10queen_rootPyS2_.has_dyn_sized_stack, 0
	.set _Z18BP_queens_root_dfsijiPK10queen_rootPyS2_.has_recursion, 0
	.set _Z18BP_queens_root_dfsijiPK10queen_rootPyS2_.has_indirect_call, 0
	.section	.AMDGPU.csdata,"",@progbits
; Kernel info:
; codeLenInByte = 5364
; TotalNumSgprs: 80
; NumVgprs: 39
; ScratchSize: 0
; MemoryBound: 0
; FloatMode: 240
; IeeeMode: 1
; LDSByteSize: 0 bytes/workgroup (compile time only)
; SGPRBlocks: 9
; VGPRBlocks: 9
; NumSGPRsForWavesPerEU: 80
; NumVGPRsForWavesPerEU: 39
; Occupancy: 6
; WaveLimiterHint : 0
; COMPUTE_PGM_RSRC2:SCRATCH_EN: 0
; COMPUTE_PGM_RSRC2:USER_SGPR: 6
; COMPUTE_PGM_RSRC2:TRAP_HANDLER: 0
; COMPUTE_PGM_RSRC2:TGID_X_EN: 1
; COMPUTE_PGM_RSRC2:TGID_Y_EN: 0
; COMPUTE_PGM_RSRC2:TGID_Z_EN: 0
; COMPUTE_PGM_RSRC2:TIDIG_COMP_CNT: 0
	.section	.AMDGPU.gpr_maximums,"",@progbits
	.set amdgpu.max_num_vgpr, 0
	.set amdgpu.max_num_agpr, 0
	.set amdgpu.max_num_sgpr, 0
	.section	.AMDGPU.csdata,"",@progbits
	.type	__hip_cuid_2281fb05daad9d44,@object ; @__hip_cuid_2281fb05daad9d44
	.section	.bss,"aw",@nobits
	.globl	__hip_cuid_2281fb05daad9d44
__hip_cuid_2281fb05daad9d44:
	.byte	0                               ; 0x0
	.size	__hip_cuid_2281fb05daad9d44, 1

	.ident	"AMD clang version 22.0.0git (https://github.com/RadeonOpenCompute/llvm-project roc-7.2.4 26084 f58b06dce1f9c15707c5f808fd002e18c2accf7e)"
	.section	".note.GNU-stack","",@progbits
	.addrsig
	.addrsig_sym __hip_cuid_2281fb05daad9d44
	.amdgpu_metadata
---
amdhsa.kernels:
  - .args:
      - .offset:         0
        .size:           4
        .value_kind:     by_value
      - .offset:         4
        .size:           4
        .value_kind:     by_value
      - .offset:         8
        .size:           4
        .value_kind:     by_value
      - .actual_access:  read_only
        .address_space:  global
        .offset:         16
        .size:           8
        .value_kind:     global_buffer
      - .actual_access:  write_only
        .address_space:  global
        .offset:         24
        .size:           8
        .value_kind:     global_buffer
      - .actual_access:  write_only
        .address_space:  global
        .offset:         32
        .size:           8
        .value_kind:     global_buffer
      - .offset:         40
        .size:           4
        .value_kind:     hidden_block_count_x
      - .offset:         44
        .size:           4
        .value_kind:     hidden_block_count_y
      - .offset:         48
        .size:           4
        .value_kind:     hidden_block_count_z
      - .offset:         52
        .size:           2
        .value_kind:     hidden_group_size_x
      - .offset:         54
        .size:           2
        .value_kind:     hidden_group_size_y
      - .offset:         56
        .size:           2
        .value_kind:     hidden_group_size_z
      - .offset:         58
        .size:           2
        .value_kind:     hidden_remainder_x
      - .offset:         60
        .size:           2
        .value_kind:     hidden_remainder_y
      - .offset:         62
        .size:           2
        .value_kind:     hidden_remainder_z
      - .offset:         80
        .size:           8
        .value_kind:     hidden_global_offset_x
      - .offset:         88
        .size:           8
        .value_kind:     hidden_global_offset_y
      - .offset:         96
        .size:           8
        .value_kind:     hidden_global_offset_z
      - .offset:         104
        .size:           2
        .value_kind:     hidden_grid_dims
    .group_segment_fixed_size: 0
    .kernarg_segment_align: 8
    .kernarg_segment_size: 296
    .language:       OpenCL C
    .language_version:
      - 2
      - 0
    .max_flat_workgroup_size: 1024
    .name:           _Z18BP_queens_root_dfsijiPK10queen_rootPyS2_
    .private_segment_fixed_size: 0
    .sgpr_count:     80
    .sgpr_spill_count: 0
    .symbol:         _Z18BP_queens_root_dfsijiPK10queen_rootPyS2_.kd
    .uniform_work_group_size: 1
    .uses_dynamic_stack: false
    .vgpr_count:     39
    .vgpr_spill_count: 0
    .wavefront_size: 64
amdhsa.target:   amdgcn-amd-amdhsa--gfx906
amdhsa.version:
  - 1
  - 2
...

	.end_amdgpu_metadata
